;; amdgpu-corpus repo=linkedin/Liger-Kernel kind=triton arch=gfx950 opt=O3 lang=triton
	.amdgcn_target "amdgcn-amd-amdhsa--gfx950"
	.amdhsa_code_object_version 5
	.text
	.globl	_relu_squared_forward_kernel    ; -- Begin function _relu_squared_forward_kernel
	.p2align	8
	.type	_relu_squared_forward_kernel,@function
_relu_squared_forward_kernel:           ; @_relu_squared_forward_kernel
.Lfunc_begin0:
	.cfi_sections .debug_frame
	.cfi_startproc
; %bb.1:
	.file	1 "/root/src/amdgpu-assembly/repos/linkedin__Liger-Kernel/triton_aot_kernels" "relu_squared_aot.py"
	.loc	1 8 0 prologue_end              ; relu_squared_aot.py:8:0
	s_load_dwordx2 s[2:3], s[0:1], 0x0
	s_load_dwordx8 s[4:11], s[0:1], 0x8
	s_load_dwordx2 s[12:13], s[0:1], 0x28
	s_waitcnt lgkmcnt(0)
	s_branch .LBB0_0
	.loc	1 0 0 is_stmt 0                 ; :0:0
.Ltmp0:
	.p2align	8
; %bb.2:
.LBB0_0:
.Ltmp1:
	.loc	1 17 31 is_stmt 1               ; relu_squared_aot.py:17:31
	v_readfirstlane_b32 s0, v0
	.loc	1 28 34                         ; relu_squared_aot.py:28:34
	s_and_b32 s0, s0, 0xc0
	.loc	1 20 23                         ; relu_squared_aot.py:20:23
	s_mul_hi_i32 s1, s8, s14
	.loc	1 17 31                         ; relu_squared_aot.py:17:31
	v_and_or_b32 v0, v0, 63, s0
	.loc	1 20 23                         ; relu_squared_aot.py:20:23
	s_mul_i32 s0, s8, s14
	.loc	1 20 13 is_stmt 0               ; relu_squared_aot.py:20:13
	s_lshl_b64 s[0:1], s[0:1], 1
	s_add_u32 s8, s6, s0
	s_addc_u32 s5, s7, s1
	.loc	1 21 23 is_stmt 1               ; relu_squared_aot.py:21:23
	s_mul_hi_i32 s1, s4, s14
	s_mul_i32 s0, s4, s14
	.loc	1 21 13 is_stmt 0               ; relu_squared_aot.py:21:13
	s_lshl_b64 s[0:1], s[0:1], 1
	s_add_u32 s0, s2, s0
	.loc	1 23 20 is_stmt 1               ; relu_squared_aot.py:23:20
	v_lshlrev_b32_e32 v0, 1, v0
	.loc	1 21 13                         ; relu_squared_aot.py:21:13
	s_addc_u32 s1, s3, s1
	.loc	1 23 20                         ; relu_squared_aot.py:23:20
	s_and_b32 s9, s5, 0xffff
	s_mov_b32 s11, 0x27000
	s_mov_b32 s10, 0x7ffffffe
	v_or_b32_e32 v9, 0x1000, v0
	buffer_load_ushort v1, v0, s[8:11], 0 offen
	buffer_load_ushort v2, v0, s[8:11], 0 offen offset:512
	buffer_load_ushort v3, v0, s[8:11], 0 offen offset:1024
	;; [unrolled: 1-line block ×7, first 2 shown]
	buffer_load_ushort v10, v9, s[8:11], 0 offen
	buffer_load_ushort v11, v9, s[8:11], 0 offen offset:512
	buffer_load_ushort v12, v9, s[8:11], 0 offen offset:1024
	;; [unrolled: 1-line block ×7, first 2 shown]
	.loc	1 28 34                         ; relu_squared_aot.py:28:34
	s_mov_b32 s2, s10
	s_and_b32 s1, s1, 0xffff
	s_mov_b32 s3, s11
	.loc	1 25 31                         ; relu_squared_aot.py:25:31
	s_waitcnt vmcnt(15)
	v_max_f16_e32 v1, v1, v1
	s_waitcnt vmcnt(14)
	v_max_f16_e32 v2, v2, v2
	;; [unrolled: 2-line block ×16, first 2 shown]
	v_max_f16_e32 v1, 0, v1
	v_max_f16_e32 v2, 0, v2
	;; [unrolled: 1-line block ×16, first 2 shown]
	.loc	1 26 21                         ; relu_squared_aot.py:26:21
	v_mul_f16_e32 v1, v1, v1
	v_mul_f16_e32 v2, v2, v2
	;; [unrolled: 1-line block ×16, first 2 shown]
	.loc	1 28 34                         ; relu_squared_aot.py:28:34
	buffer_store_short v1, v0, s[0:3], 0 offen
	buffer_store_short v2, v0, s[0:3], 0 offen offset:512
	buffer_store_short v3, v0, s[0:3], 0 offen offset:1024
	;; [unrolled: 1-line block ×7, first 2 shown]
	buffer_store_short v10, v9, s[0:3], 0 offen
	buffer_store_short v11, v9, s[0:3], 0 offen offset:512
	buffer_store_short v12, v9, s[0:3], 0 offen offset:1024
	;; [unrolled: 1-line block ×7, first 2 shown]
	.loc	1 28 4 is_stmt 0                ; relu_squared_aot.py:28:4
	s_endpgm
.Ltmp2:
	.section	.rodata,"a",@progbits
	.p2align	6, 0x0
	.amdhsa_kernel _relu_squared_forward_kernel
		.amdhsa_group_segment_fixed_size 0
		.amdhsa_private_segment_fixed_size 0
		.amdhsa_kernarg_size 48
		.amdhsa_user_sgpr_count 14
		.amdhsa_user_sgpr_dispatch_ptr 0
		.amdhsa_user_sgpr_queue_ptr 0
		.amdhsa_user_sgpr_kernarg_segment_ptr 1
		.amdhsa_user_sgpr_dispatch_id 0
		.amdhsa_user_sgpr_kernarg_preload_length 12
		.amdhsa_user_sgpr_kernarg_preload_offset 0
		.amdhsa_user_sgpr_private_segment_size 0
		.amdhsa_uses_dynamic_stack 0
		.amdhsa_enable_private_segment 0
		.amdhsa_system_sgpr_workgroup_id_x 1
		.amdhsa_system_sgpr_workgroup_id_y 0
		.amdhsa_system_sgpr_workgroup_id_z 0
		.amdhsa_system_sgpr_workgroup_info 0
		.amdhsa_system_vgpr_workitem_id 0
		.amdhsa_next_free_vgpr 18
		.amdhsa_next_free_sgpr 15
		.amdhsa_accum_offset 20
		.amdhsa_reserve_vcc 0
		.amdhsa_reserve_xnack_mask 1
		.amdhsa_float_round_mode_32 0
		.amdhsa_float_round_mode_16_64 0
		.amdhsa_float_denorm_mode_32 3
		.amdhsa_float_denorm_mode_16_64 3
		.amdhsa_dx10_clamp 1
		.amdhsa_ieee_mode 1
		.amdhsa_fp16_overflow 0
		.amdhsa_tg_split 0
		.amdhsa_exception_fp_ieee_invalid_op 0
		.amdhsa_exception_fp_denorm_src 0
		.amdhsa_exception_fp_ieee_div_zero 0
		.amdhsa_exception_fp_ieee_overflow 0
		.amdhsa_exception_fp_ieee_underflow 0
		.amdhsa_exception_fp_ieee_inexact 0
		.amdhsa_exception_int_div_zero 0
	.end_amdhsa_kernel
	.text
.Lfunc_end0:
	.size	_relu_squared_forward_kernel, .Lfunc_end0-_relu_squared_forward_kernel
	.cfi_endproc
                                        ; -- End function
	.set _relu_squared_forward_kernel.num_vgpr, 18
	.set _relu_squared_forward_kernel.num_agpr, 0
	.set _relu_squared_forward_kernel.numbered_sgpr, 15
	.set _relu_squared_forward_kernel.num_named_barrier, 0
	.set _relu_squared_forward_kernel.private_seg_size, 0
	.set _relu_squared_forward_kernel.uses_vcc, 0
	.set _relu_squared_forward_kernel.uses_flat_scratch, 0
	.set _relu_squared_forward_kernel.has_dyn_sized_stack, 0
	.set _relu_squared_forward_kernel.has_recursion, 0
	.set _relu_squared_forward_kernel.has_indirect_call, 0
	.section	.AMDGPU.csdata,"",@progbits
; Kernel info:
; codeLenInByte = 884
; TotalNumSgprs: 21
; NumVgprs: 18
; NumAgprs: 0
; TotalNumVgprs: 18
; ScratchSize: 0
; MemoryBound: 0
; FloatMode: 240
; IeeeMode: 1
; LDSByteSize: 0 bytes/workgroup (compile time only)
; SGPRBlocks: 2
; VGPRBlocks: 2
; NumSGPRsForWavesPerEU: 21
; NumVGPRsForWavesPerEU: 18
; AccumOffset: 20
; Occupancy: 8
; WaveLimiterHint : 0
; COMPUTE_PGM_RSRC2:SCRATCH_EN: 0
; COMPUTE_PGM_RSRC2:USER_SGPR: 14
; COMPUTE_PGM_RSRC2:TRAP_HANDLER: 0
; COMPUTE_PGM_RSRC2:TGID_X_EN: 1
; COMPUTE_PGM_RSRC2:TGID_Y_EN: 0
; COMPUTE_PGM_RSRC2:TGID_Z_EN: 0
; COMPUTE_PGM_RSRC2:TIDIG_COMP_CNT: 0
; COMPUTE_PGM_RSRC3_GFX90A:ACCUM_OFFSET: 4
; COMPUTE_PGM_RSRC3_GFX90A:TG_SPLIT: 0
	.text
	.p2alignl 6, 3212836864
	.fill 256, 4, 3212836864
	.section	.AMDGPU.gpr_maximums,"",@progbits
	.set amdgpu.max_num_vgpr, 0
	.set amdgpu.max_num_agpr, 0
	.set amdgpu.max_num_sgpr, 0
	.set amdgpu.max_num_named_barrier, 0
	.text
	.section	.debug_abbrev,"",@progbits
	.byte	1                               ; Abbreviation Code
	.byte	17                              ; DW_TAG_compile_unit
	.byte	0                               ; DW_CHILDREN_no
	.byte	37                              ; DW_AT_producer
	.byte	14                              ; DW_FORM_strp
	.byte	19                              ; DW_AT_language
	.byte	5                               ; DW_FORM_data2
	.byte	3                               ; DW_AT_name
	.byte	14                              ; DW_FORM_strp
	.byte	16                              ; DW_AT_stmt_list
	.byte	23                              ; DW_FORM_sec_offset
	.byte	27                              ; DW_AT_comp_dir
	.byte	14                              ; DW_FORM_strp
	.byte	17                              ; DW_AT_low_pc
	.byte	1                               ; DW_FORM_addr
	.byte	18                              ; DW_AT_high_pc
	.byte	6                               ; DW_FORM_data4
	.byte	0                               ; EOM(1)
	.byte	0                               ; EOM(2)
	;; [unrolled: 1-line block ×3, first 2 shown]
	.section	.debug_info,"",@progbits
.Lcu_begin0:
	.long	.Ldebug_info_end0-.Ldebug_info_start0 ; Length of Unit
.Ldebug_info_start0:
	.short	4                               ; DWARF version number
	.long	.debug_abbrev                   ; Offset Into Abbrev. Section
	.byte	8                               ; Address Size (in bytes)
	.byte	1                               ; Abbrev [1] 0xb:0x1f DW_TAG_compile_unit
	.long	.Linfo_string0                  ; DW_AT_producer
	.short	2                               ; DW_AT_language
	.long	.Linfo_string1                  ; DW_AT_name
	.long	.Lline_table_start0             ; DW_AT_stmt_list
	.long	.Linfo_string2                  ; DW_AT_comp_dir
	.quad	.Lfunc_begin0                   ; DW_AT_low_pc
	.long	.Lfunc_end0-.Lfunc_begin0       ; DW_AT_high_pc
.Ldebug_info_end0:
	.section	.debug_str,"MS",@progbits,1
.Linfo_string0:
	.asciz	"triton"                        ; string offset=0
.Linfo_string1:
	.asciz	"relu_squared_aot.py"           ; string offset=7
.Linfo_string2:
	.asciz	"/root/src/amdgpu-assembly/repos/linkedin__Liger-Kernel/triton_aot_kernels" ; string offset=27
	.section	".note.GNU-stack","",@progbits
	.amdgpu_metadata
---
amdhsa.kernels:
  - .agpr_count:     0
    .args:
      - .address_space:  global
        .offset:         0
        .size:           8
        .value_kind:     global_buffer
      - .offset:         8
        .size:           4
        .value_kind:     by_value
      - .address_space:  global
        .offset:         16
        .size:           8
        .value_kind:     global_buffer
      - .offset:         24
        .size:           4
        .value_kind:     by_value
      - .address_space:  global
        .offset:         32
        .size:           8
        .value_kind:     global_buffer
      - .address_space:  global
        .offset:         40
        .size:           8
        .value_kind:     global_buffer
    .group_segment_fixed_size: 0
    .kernarg_segment_align: 8
    .kernarg_segment_size: 48
    .max_flat_workgroup_size: 256
    .name:           _relu_squared_forward_kernel
    .private_segment_fixed_size: 0
    .sgpr_count:     21
    .sgpr_spill_count: 0
    .symbol:         _relu_squared_forward_kernel.kd
    .uniform_work_group_size: 1
    .uses_dynamic_stack: false
    .vgpr_count:     18
    .vgpr_spill_count: 0
    .wavefront_size: 64
amdhsa.target:   amdgcn-amd-amdhsa--gfx950
amdhsa.version:
  - 1
  - 2
...

	.end_amdgpu_metadata
	.section	.debug_line,"",@progbits
.Lline_table_start0:
